;; amdgpu-corpus repo=ROCm/rocFFT kind=compiled arch=gfx906 opt=O3
	.text
	.amdgcn_target "amdgcn-amd-amdhsa--gfx906"
	.amdhsa_code_object_version 6
	.protected	fft_rtc_back_len1144_factors_13_11_8_wgs_104_tpt_104_half_op_CI_CI_unitstride_sbrr_dirReg ; -- Begin function fft_rtc_back_len1144_factors_13_11_8_wgs_104_tpt_104_half_op_CI_CI_unitstride_sbrr_dirReg
	.globl	fft_rtc_back_len1144_factors_13_11_8_wgs_104_tpt_104_half_op_CI_CI_unitstride_sbrr_dirReg
	.p2align	8
	.type	fft_rtc_back_len1144_factors_13_11_8_wgs_104_tpt_104_half_op_CI_CI_unitstride_sbrr_dirReg,@function
fft_rtc_back_len1144_factors_13_11_8_wgs_104_tpt_104_half_op_CI_CI_unitstride_sbrr_dirReg: ; @fft_rtc_back_len1144_factors_13_11_8_wgs_104_tpt_104_half_op_CI_CI_unitstride_sbrr_dirReg
; %bb.0:
	s_load_dwordx4 s[8:11], s[4:5], 0x58
	s_load_dwordx4 s[12:15], s[4:5], 0x0
	;; [unrolled: 1-line block ×3, first 2 shown]
	v_mul_u32_u24_e32 v1, 0x277, v0
	v_mov_b32_e32 v8, 0
	v_mov_b32_e32 v6, 0
	s_waitcnt lgkmcnt(0)
	v_cmp_lt_u64_e64 s[0:1], s[14:15], 2
	v_add_u32_sdwa v10, s6, v1 dst_sel:DWORD dst_unused:UNUSED_PAD src0_sel:DWORD src1_sel:WORD_1
	v_mov_b32_e32 v11, v8
	s_and_b64 vcc, exec, s[0:1]
	v_mov_b32_e32 v7, 0
	s_cbranch_vccnz .LBB0_8
; %bb.1:
	s_load_dwordx2 s[0:1], s[4:5], 0x10
	s_add_u32 s2, s18, 8
	s_addc_u32 s3, s19, 0
	s_add_u32 s6, s16, 8
	s_addc_u32 s7, s17, 0
	v_mov_b32_e32 v6, 0
	s_waitcnt lgkmcnt(0)
	s_add_u32 s20, s0, 8
	v_mov_b32_e32 v7, 0
	v_mov_b32_e32 v1, v6
	s_addc_u32 s21, s1, 0
	s_mov_b64 s[22:23], 1
	v_mov_b32_e32 v2, v7
.LBB0_2:                                ; =>This Inner Loop Header: Depth=1
	s_load_dwordx2 s[24:25], s[20:21], 0x0
                                        ; implicit-def: $vgpr3_vgpr4
	s_waitcnt lgkmcnt(0)
	v_or_b32_e32 v9, s25, v11
	v_cmp_ne_u64_e32 vcc, 0, v[8:9]
	s_and_saveexec_b64 s[0:1], vcc
	s_xor_b64 s[26:27], exec, s[0:1]
	s_cbranch_execz .LBB0_4
; %bb.3:                                ;   in Loop: Header=BB0_2 Depth=1
	v_cvt_f32_u32_e32 v3, s24
	v_cvt_f32_u32_e32 v4, s25
	s_sub_u32 s0, 0, s24
	s_subb_u32 s1, 0, s25
	v_mac_f32_e32 v3, 0x4f800000, v4
	v_rcp_f32_e32 v3, v3
	v_mul_f32_e32 v3, 0x5f7ffffc, v3
	v_mul_f32_e32 v4, 0x2f800000, v3
	v_trunc_f32_e32 v4, v4
	v_mac_f32_e32 v3, 0xcf800000, v4
	v_cvt_u32_f32_e32 v4, v4
	v_cvt_u32_f32_e32 v3, v3
	v_mul_lo_u32 v5, s0, v4
	v_mul_hi_u32 v9, s0, v3
	v_mul_lo_u32 v13, s1, v3
	v_mul_lo_u32 v12, s0, v3
	v_add_u32_e32 v5, v9, v5
	v_add_u32_e32 v5, v5, v13
	v_mul_hi_u32 v9, v3, v12
	v_mul_lo_u32 v13, v3, v5
	v_mul_hi_u32 v15, v3, v5
	v_mul_hi_u32 v14, v4, v12
	v_mul_lo_u32 v12, v4, v12
	v_mul_hi_u32 v16, v4, v5
	v_add_co_u32_e32 v9, vcc, v9, v13
	v_addc_co_u32_e32 v13, vcc, 0, v15, vcc
	v_mul_lo_u32 v5, v4, v5
	v_add_co_u32_e32 v9, vcc, v9, v12
	v_addc_co_u32_e32 v9, vcc, v13, v14, vcc
	v_addc_co_u32_e32 v12, vcc, 0, v16, vcc
	v_add_co_u32_e32 v5, vcc, v9, v5
	v_addc_co_u32_e32 v9, vcc, 0, v12, vcc
	v_add_co_u32_e32 v3, vcc, v3, v5
	v_addc_co_u32_e32 v4, vcc, v4, v9, vcc
	v_mul_lo_u32 v5, s0, v4
	v_mul_hi_u32 v9, s0, v3
	v_mul_lo_u32 v12, s1, v3
	v_mul_lo_u32 v13, s0, v3
	v_add_u32_e32 v5, v9, v5
	v_add_u32_e32 v5, v5, v12
	v_mul_lo_u32 v14, v3, v5
	v_mul_hi_u32 v15, v3, v13
	v_mul_hi_u32 v16, v3, v5
	v_mul_hi_u32 v12, v4, v13
	v_mul_lo_u32 v13, v4, v13
	v_mul_hi_u32 v9, v4, v5
	v_add_co_u32_e32 v14, vcc, v15, v14
	v_addc_co_u32_e32 v15, vcc, 0, v16, vcc
	v_mul_lo_u32 v5, v4, v5
	v_add_co_u32_e32 v13, vcc, v14, v13
	v_addc_co_u32_e32 v12, vcc, v15, v12, vcc
	v_addc_co_u32_e32 v9, vcc, 0, v9, vcc
	v_add_co_u32_e32 v5, vcc, v12, v5
	v_addc_co_u32_e32 v9, vcc, 0, v9, vcc
	v_add_co_u32_e32 v5, vcc, v3, v5
	v_addc_co_u32_e32 v9, vcc, v4, v9, vcc
	v_mad_u64_u32 v[3:4], s[0:1], v10, v9, 0
	v_mul_hi_u32 v12, v10, v5
	v_add_co_u32_e32 v14, vcc, v12, v3
	v_addc_co_u32_e32 v15, vcc, 0, v4, vcc
	v_mad_u64_u32 v[3:4], s[0:1], v11, v5, 0
	v_mad_u64_u32 v[12:13], s[0:1], v11, v9, 0
	v_add_co_u32_e32 v3, vcc, v14, v3
	v_addc_co_u32_e32 v3, vcc, v15, v4, vcc
	v_addc_co_u32_e32 v4, vcc, 0, v13, vcc
	v_add_co_u32_e32 v5, vcc, v3, v12
	v_addc_co_u32_e32 v9, vcc, 0, v4, vcc
	v_mul_lo_u32 v12, s25, v5
	v_mul_lo_u32 v13, s24, v9
	v_mad_u64_u32 v[3:4], s[0:1], s24, v5, 0
	v_add3_u32 v4, v4, v13, v12
	v_sub_u32_e32 v12, v11, v4
	v_mov_b32_e32 v13, s25
	v_sub_co_u32_e32 v3, vcc, v10, v3
	v_subb_co_u32_e64 v12, s[0:1], v12, v13, vcc
	v_subrev_co_u32_e64 v13, s[0:1], s24, v3
	v_subbrev_co_u32_e64 v12, s[0:1], 0, v12, s[0:1]
	v_cmp_le_u32_e64 s[0:1], s25, v12
	v_cndmask_b32_e64 v14, 0, -1, s[0:1]
	v_cmp_le_u32_e64 s[0:1], s24, v13
	v_cndmask_b32_e64 v13, 0, -1, s[0:1]
	v_cmp_eq_u32_e64 s[0:1], s25, v12
	v_cndmask_b32_e64 v12, v14, v13, s[0:1]
	v_add_co_u32_e64 v13, s[0:1], 2, v5
	v_addc_co_u32_e64 v14, s[0:1], 0, v9, s[0:1]
	v_add_co_u32_e64 v15, s[0:1], 1, v5
	v_addc_co_u32_e64 v16, s[0:1], 0, v9, s[0:1]
	v_subb_co_u32_e32 v4, vcc, v11, v4, vcc
	v_cmp_ne_u32_e64 s[0:1], 0, v12
	v_cmp_le_u32_e32 vcc, s25, v4
	v_cndmask_b32_e64 v12, v16, v14, s[0:1]
	v_cndmask_b32_e64 v14, 0, -1, vcc
	v_cmp_le_u32_e32 vcc, s24, v3
	v_cndmask_b32_e64 v3, 0, -1, vcc
	v_cmp_eq_u32_e32 vcc, s25, v4
	v_cndmask_b32_e32 v3, v14, v3, vcc
	v_cmp_ne_u32_e32 vcc, 0, v3
	v_cndmask_b32_e64 v3, v15, v13, s[0:1]
	v_cndmask_b32_e32 v4, v9, v12, vcc
	v_cndmask_b32_e32 v3, v5, v3, vcc
.LBB0_4:                                ;   in Loop: Header=BB0_2 Depth=1
	s_andn2_saveexec_b64 s[0:1], s[26:27]
	s_cbranch_execz .LBB0_6
; %bb.5:                                ;   in Loop: Header=BB0_2 Depth=1
	v_cvt_f32_u32_e32 v3, s24
	s_sub_i32 s26, 0, s24
	v_rcp_iflag_f32_e32 v3, v3
	v_mul_f32_e32 v3, 0x4f7ffffe, v3
	v_cvt_u32_f32_e32 v3, v3
	v_mul_lo_u32 v4, s26, v3
	v_mul_hi_u32 v4, v3, v4
	v_add_u32_e32 v3, v3, v4
	v_mul_hi_u32 v3, v10, v3
	v_mul_lo_u32 v4, v3, s24
	v_add_u32_e32 v5, 1, v3
	v_sub_u32_e32 v4, v10, v4
	v_subrev_u32_e32 v9, s24, v4
	v_cmp_le_u32_e32 vcc, s24, v4
	v_cndmask_b32_e32 v4, v4, v9, vcc
	v_cndmask_b32_e32 v3, v3, v5, vcc
	v_add_u32_e32 v5, 1, v3
	v_cmp_le_u32_e32 vcc, s24, v4
	v_cndmask_b32_e32 v3, v3, v5, vcc
	v_mov_b32_e32 v4, v8
.LBB0_6:                                ;   in Loop: Header=BB0_2 Depth=1
	s_or_b64 exec, exec, s[0:1]
	v_mul_lo_u32 v5, v4, s24
	v_mul_lo_u32 v9, v3, s25
	v_mad_u64_u32 v[12:13], s[0:1], v3, s24, 0
	s_load_dwordx2 s[0:1], s[6:7], 0x0
	s_load_dwordx2 s[24:25], s[2:3], 0x0
	v_add3_u32 v5, v13, v9, v5
	v_sub_co_u32_e32 v9, vcc, v10, v12
	v_subb_co_u32_e32 v5, vcc, v11, v5, vcc
	s_waitcnt lgkmcnt(0)
	v_mul_lo_u32 v10, s0, v5
	v_mul_lo_u32 v11, s1, v9
	v_mad_u64_u32 v[6:7], s[0:1], s0, v9, v[6:7]
	s_add_u32 s22, s22, 1
	s_addc_u32 s23, s23, 0
	s_add_u32 s2, s2, 8
	v_mul_lo_u32 v5, s24, v5
	v_mul_lo_u32 v12, s25, v9
	v_mad_u64_u32 v[1:2], s[0:1], s24, v9, v[1:2]
	v_add3_u32 v7, v11, v7, v10
	s_addc_u32 s3, s3, 0
	v_mov_b32_e32 v9, s14
	s_add_u32 s6, s6, 8
	v_mov_b32_e32 v10, s15
	s_addc_u32 s7, s7, 0
	v_cmp_ge_u64_e32 vcc, s[22:23], v[9:10]
	s_add_u32 s20, s20, 8
	v_add3_u32 v2, v12, v2, v5
	s_addc_u32 s21, s21, 0
	s_cbranch_vccnz .LBB0_9
; %bb.7:                                ;   in Loop: Header=BB0_2 Depth=1
	v_mov_b32_e32 v11, v4
	v_mov_b32_e32 v10, v3
	s_branch .LBB0_2
.LBB0_8:
	v_mov_b32_e32 v1, v6
	v_mov_b32_e32 v3, v10
	;; [unrolled: 1-line block ×4, first 2 shown]
.LBB0_9:
	s_load_dwordx2 s[4:5], s[4:5], 0x28
	s_lshl_b64 s[6:7], s[14:15], 3
	s_add_u32 s2, s18, s6
	s_addc_u32 s3, s19, s7
                                        ; implicit-def: $vgpr5
	s_waitcnt lgkmcnt(0)
	v_cmp_gt_u64_e64 s[0:1], s[4:5], v[3:4]
	v_cmp_le_u64_e32 vcc, s[4:5], v[3:4]
	s_and_saveexec_b64 s[4:5], vcc
	s_xor_b64 s[4:5], exec, s[4:5]
; %bb.10:
	s_mov_b32 s14, 0x2762763
	v_mul_hi_u32 v5, v0, s14
                                        ; implicit-def: $vgpr6_vgpr7
	v_mul_u32_u24_e32 v5, 0x68, v5
	v_sub_u32_e32 v5, v0, v5
                                        ; implicit-def: $vgpr0
; %bb.11:
	s_andn2_saveexec_b64 s[4:5], s[4:5]
	s_cbranch_execz .LBB0_13
; %bb.12:
	s_add_u32 s6, s16, s6
	s_addc_u32 s7, s17, s7
	s_load_dwordx2 s[6:7], s[6:7], 0x0
	s_mov_b32 s14, 0x2762763
	v_mul_hi_u32 v5, v0, s14
	v_lshlrev_b64 v[6:7], 2, v[6:7]
	s_waitcnt lgkmcnt(0)
	v_mul_lo_u32 v10, s7, v3
	v_mul_lo_u32 v11, s6, v4
	v_mad_u64_u32 v[8:9], s[6:7], s6, v3, 0
	v_mul_u32_u24_e32 v5, 0x68, v5
	v_sub_u32_e32 v5, v0, v5
	v_add3_u32 v9, v9, v11, v10
	v_lshlrev_b64 v[8:9], 2, v[8:9]
	v_mov_b32_e32 v0, s9
	v_add_co_u32_e32 v8, vcc, s8, v8
	v_addc_co_u32_e32 v0, vcc, v0, v9, vcc
	v_add_co_u32_e32 v6, vcc, v8, v6
	v_addc_co_u32_e32 v0, vcc, v0, v7, vcc
	v_lshlrev_b32_e32 v10, 2, v5
	v_add_co_u32_e32 v6, vcc, v6, v10
	v_addc_co_u32_e32 v7, vcc, 0, v0, vcc
	global_load_dword v0, v[6:7], off
	global_load_dword v11, v[6:7], off offset:416
	global_load_dword v12, v[6:7], off offset:832
	;; [unrolled: 1-line block ×7, first 2 shown]
	v_add_co_u32_e32 v8, vcc, 0x1000, v6
	v_addc_co_u32_e32 v9, vcc, 0, v7, vcc
	global_load_dword v18, v[6:7], off offset:3328
	global_load_dword v19, v[6:7], off offset:3744
	global_load_dword v20, v[8:9], off offset:64
	v_add_u32_e32 v6, 0, v10
	v_add_u32_e32 v7, 0x200, v6
	;; [unrolled: 1-line block ×4, first 2 shown]
	s_waitcnt vmcnt(9)
	ds_write2_b32 v6, v0, v11 offset1:104
	s_waitcnt vmcnt(7)
	ds_write2_b32 v7, v12, v13 offset0:80 offset1:184
	s_waitcnt vmcnt(5)
	ds_write2_b32 v8, v14, v15 offset0:32 offset1:136
	;; [unrolled: 2-line block ×3, first 2 shown]
	v_add_u32_e32 v0, 0xc00, v6
	s_waitcnt vmcnt(1)
	ds_write2_b32 v0, v18, v19 offset0:64 offset1:168
	s_waitcnt vmcnt(0)
	ds_write_b32 v6, v20 offset:4160
.LBB0_13:
	s_or_b64 exec, exec, s[4:5]
	v_lshl_add_u32 v0, v5, 2, 0
	v_add_u32_e32 v6, 0x200, v0
	v_add_u32_e32 v24, 0xc00, v0
	s_waitcnt lgkmcnt(0)
	s_barrier
	ds_read2_b32 v[11:12], v6 offset0:48 offset1:136
	v_add_u32_e32 v21, 0x400, v0
	ds_read_b32 v33, v0 offset:4224
	ds_read2_b32 v[9:10], v0 offset1:88
	ds_read2_b32 v[15:16], v21 offset0:96 offset1:184
	ds_read2_b32 v[13:14], v24 offset0:112 offset1:200
	v_add_u32_e32 v25, 0x800, v0
	ds_read2_b32 v[19:20], v25 offset0:16 offset1:104
	v_add_u32_e32 v7, 0xa00, v0
	s_waitcnt lgkmcnt(3)
	v_pk_add_f16 v26, v10, v33 neg_lo:[0,1] neg_hi:[0,1]
	s_mov_b32 s4, 0xb770
	ds_read2_b32 v[17:18], v7 offset0:64 offset1:152
	v_pk_add_f16 v29, v33, v10
	v_pk_mul_f16 v8, v26, s4 op_sel_hi:[1,0]
	s_movk_i32 s6, 0x3b15
	s_waitcnt lgkmcnt(2)
	v_pk_add_f16 v27, v11, v14 neg_lo:[0,1] neg_hi:[0,1]
	s_mov_b32 s21, 0xba95
	v_pk_fma_f16 v38, v29, s6, v8 op_sel:[0,0,1] op_sel_hi:[1,0,0] neg_lo:[0,0,1] neg_hi:[0,0,1]
	v_pk_fma_f16 v39, v29, s6, v8 op_sel:[0,0,1] op_sel_hi:[1,0,0]
	v_pk_add_f16 v30, v14, v11
	v_pk_mul_f16 v8, v27, s21 op_sel_hi:[1,0]
	s_movk_i32 s7, 0x388b
	v_pk_add_f16 v28, v12, v13 neg_lo:[0,1] neg_hi:[0,1]
	s_mov_b32 s22, 0xbbf1
	v_pk_fma_f16 v41, v30, s7, v8 op_sel:[0,0,1] op_sel_hi:[1,0,0] neg_lo:[0,0,1] neg_hi:[0,0,1]
	v_pk_fma_f16 v42, v30, s7, v8 op_sel:[0,0,1] op_sel_hi:[1,0,0]
	v_pk_add_f16 v31, v13, v12
	v_pk_mul_f16 v8, v28, s22 op_sel_hi:[1,0]
	s_movk_i32 s8, 0x2fb7
	s_mov_b32 s16, 0xb3a8
	s_waitcnt lgkmcnt(1)
	v_pk_add_f16 v37, v19, v20 neg_lo:[0,1] neg_hi:[0,1]
	v_pk_fma_f16 v43, v31, s8, v8 op_sel:[0,0,1] op_sel_hi:[1,0,0] neg_lo:[0,0,1] neg_hi:[0,0,1]
	v_pk_fma_f16 v44, v31, s8, v8 op_sel:[0,0,1] op_sel_hi:[1,0,0]
	s_mov_b32 s18, 0xbbc4
	v_pk_add_f16 v40, v20, v19
	v_pk_mul_f16 v8, v37, s16 op_sel_hi:[1,0]
	s_mov_b32 s9, 0xbb7b
	s_waitcnt lgkmcnt(0)
	v_pk_add_f16 v32, v15, v18 neg_lo:[0,1] neg_hi:[0,1]
	v_pk_fma_f16 v49, v40, s18, v8 op_sel:[0,0,1] op_sel_hi:[1,0,0] neg_lo:[0,0,1] neg_hi:[0,0,1]
	v_pk_fma_f16 v50, v40, s18, v8 op_sel:[0,0,1] op_sel_hi:[1,0,0]
	v_add_f16_sdwa v8, v9, v39 dst_sel:DWORD dst_unused:UNUSED_PAD src0_sel:WORD_1 src1_sel:WORD_1
	s_mov_b32 s15, 0xb5ac
	v_pk_add_f16 v35, v18, v15
	v_pk_mul_f16 v7, v32, s9 op_sel_hi:[1,0]
	s_mov_b32 s14, 0xb94e
	v_pk_add_f16 v34, v16, v17 neg_lo:[0,1] neg_hi:[0,1]
	v_add_f16_sdwa v8, v42, v8 dst_sel:DWORD dst_unused:UNUSED_PAD src0_sel:WORD_1 src1_sel:DWORD
	v_pk_fma_f16 v45, v35, s15, v7 op_sel:[0,0,1] op_sel_hi:[1,0,0] neg_lo:[0,0,1] neg_hi:[0,0,1]
	v_pk_fma_f16 v46, v35, s15, v7 op_sel:[0,0,1] op_sel_hi:[1,0,0]
	s_mov_b32 s17, 0xb9fd
	v_pk_add_f16 v36, v17, v16
	v_pk_mul_f16 v7, v34, s14 op_sel_hi:[1,0]
	v_add_f16_sdwa v8, v44, v8 dst_sel:DWORD dst_unused:UNUSED_PAD src0_sel:WORD_1 src1_sel:DWORD
	v_pk_fma_f16 v48, v36, s17, v7 op_sel:[0,0,1] op_sel_hi:[1,0,0]
	v_add_f16_sdwa v8, v46, v8 dst_sel:DWORD dst_unused:UNUSED_PAD src0_sel:WORD_1 src1_sel:DWORD
	v_add_f16_sdwa v8, v48, v8 dst_sel:DWORD dst_unused:UNUSED_PAD src0_sel:WORD_1 src1_sel:DWORD
	v_add_f16_sdwa v22, v50, v8 dst_sel:DWORD dst_unused:UNUSED_PAD src0_sel:WORD_1 src1_sel:DWORD
	v_pk_mul_f16 v8, v26, s21 op_sel_hi:[1,0]
	v_pk_fma_f16 v51, v29, s7, v8 op_sel:[0,0,1] op_sel_hi:[1,0,0] neg_lo:[0,0,1] neg_hi:[0,0,1]
	v_pk_fma_f16 v52, v29, s7, v8 op_sel:[0,0,1] op_sel_hi:[1,0,0]
	v_pk_mul_f16 v8, v27, s9 op_sel_hi:[1,0]
	v_pk_fma_f16 v53, v30, s15, v8 op_sel:[0,0,1] op_sel_hi:[1,0,0] neg_lo:[0,0,1] neg_hi:[0,0,1]
	v_pk_fma_f16 v54, v30, s15, v8 op_sel:[0,0,1] op_sel_hi:[1,0,0]
	v_pk_mul_f16 v8, v28, s16 op_sel_hi:[1,0]
	s_movk_i32 s23, 0x394e
	v_pk_fma_f16 v55, v31, s18, v8 op_sel:[0,0,1] op_sel_hi:[1,0,0] neg_lo:[0,0,1] neg_hi:[0,0,1]
	v_pk_fma_f16 v56, v31, s18, v8 op_sel:[0,0,1] op_sel_hi:[1,0,0]
	v_pk_mul_f16 v8, v32, s23 op_sel_hi:[1,0]
	s_movk_i32 s19, 0x3bf1
	v_pk_fma_f16 v57, v35, s17, v8 op_sel:[0,0,1] op_sel_hi:[1,0,0] neg_lo:[0,0,1] neg_hi:[0,0,1]
	v_pk_fma_f16 v58, v35, s17, v8 op_sel:[0,0,1] op_sel_hi:[1,0,0]
	v_pk_mul_f16 v8, v34, s19 op_sel_hi:[1,0]
	v_pk_fma_f16 v59, v36, s8, v8 op_sel:[0,0,1] op_sel_hi:[1,0,0] neg_lo:[0,0,1] neg_hi:[0,0,1]
	v_pk_fma_f16 v60, v36, s8, v8 op_sel:[0,0,1] op_sel_hi:[1,0,0]
	v_add_f16_e32 v8, v9, v51
	v_add_f16_e32 v8, v53, v8
	;; [unrolled: 1-line block ×3, first 2 shown]
	s_movk_i32 s20, 0x3770
	v_add_f16_e32 v8, v57, v8
	v_add_f16_e32 v63, v59, v8
	v_pk_mul_f16 v8, v37, s20 op_sel_hi:[1,0]
	v_pk_fma_f16 v47, v36, s17, v7 op_sel:[0,0,1] op_sel_hi:[1,0,0] neg_lo:[0,0,1] neg_hi:[0,0,1]
	v_add_f16_e32 v7, v9, v38
	v_pk_fma_f16 v61, v40, s6, v8 op_sel:[0,0,1] op_sel_hi:[1,0,0] neg_lo:[0,0,1] neg_hi:[0,0,1]
	v_pk_fma_f16 v62, v40, s6, v8 op_sel:[0,0,1] op_sel_hi:[1,0,0]
	v_add_f16_sdwa v8, v9, v52 dst_sel:DWORD dst_unused:UNUSED_PAD src0_sel:WORD_1 src1_sel:WORD_1
	v_add_f16_e32 v7, v41, v7
	v_add_f16_sdwa v8, v54, v8 dst_sel:DWORD dst_unused:UNUSED_PAD src0_sel:WORD_1 src1_sel:DWORD
	v_add_f16_e32 v7, v43, v7
	v_add_f16_sdwa v8, v56, v8 dst_sel:DWORD dst_unused:UNUSED_PAD src0_sel:WORD_1 src1_sel:DWORD
	;; [unrolled: 2-line block ×4, first 2 shown]
	s_movk_i32 s4, 0x58
	v_add_f16_sdwa v23, v62, v8 dst_sel:DWORD dst_unused:UNUSED_PAD src0_sel:WORD_1 src1_sel:DWORD
	v_cmp_gt_u32_e32 vcc, s4, v5
	v_add_f16_e32 v8, v49, v7
	v_add_f16_e32 v7, v61, v63
	s_barrier
	s_and_saveexec_b64 s[4:5], vcc
	s_cbranch_execz .LBB0_15
; %bb.14:
	v_mul_f16_e32 v63, 0xbbf1, v26
	v_lshrrev_b32_e32 v64, 16, v29
	v_fma_f16 v65, v64, s8, v63
	v_mul_f16_e32 v66, 0xb3a8, v27
	v_lshrrev_b32_e32 v67, 16, v30
	v_add_f16_sdwa v65, v9, v65 dst_sel:DWORD dst_unused:UNUSED_PAD src0_sel:WORD_1 src1_sel:DWORD
	v_fma_f16 v68, v67, s18, v66
	v_add_f16_e32 v65, v68, v65
	v_mul_f16_e32 v68, 0x3b7b, v28
	v_lshrrev_b32_e32 v69, 16, v31
	v_fma_f16 v70, v69, s15, v68
	v_add_f16_e32 v65, v70, v65
	v_mul_f16_e32 v70, 0x3770, v32
	v_lshrrev_b32_e32 v71, 16, v35
	;; [unrolled: 4-line block ×4, first 2 shown]
	v_fma_f16 v76, v75, s17, v74
	v_add_f16_e32 v65, v76, v65
	v_mul_f16_sdwa v76, v26, s22 dst_sel:DWORD dst_unused:UNUSED_PAD src0_sel:WORD_1 src1_sel:DWORD
	v_fma_f16 v77, v29, s8, -v76
	v_mul_f16_sdwa v78, v27, s16 dst_sel:DWORD dst_unused:UNUSED_PAD src0_sel:WORD_1 src1_sel:DWORD
	v_add_f16_e32 v77, v9, v77
	v_fma_f16 v79, v30, s18, -v78
	s_movk_i32 s24, 0x3b7b
	v_add_f16_e32 v77, v79, v77
	v_mul_f16_sdwa v79, v28, s24 dst_sel:DWORD dst_unused:UNUSED_PAD src0_sel:WORD_1 src1_sel:DWORD
	v_fma_f16 v80, v31, s15, -v79
	v_add_f16_e32 v77, v80, v77
	v_mul_f16_sdwa v80, v32, s20 dst_sel:DWORD dst_unused:UNUSED_PAD src0_sel:WORD_1 src1_sel:DWORD
	v_fma_f16 v81, v35, s6, -v80
	;; [unrolled: 3-line block ×4, first 2 shown]
	v_add_f16_e32 v77, v83, v77
	v_mul_f16_e32 v83, 0xbb7b, v26
	v_fma_f16 v84, v64, s15, v83
	v_mul_f16_e32 v85, 0x394e, v27
	v_add_f16_sdwa v84, v9, v84 dst_sel:DWORD dst_unused:UNUSED_PAD src0_sel:WORD_1 src1_sel:DWORD
	v_fma_f16 v86, v67, s17, v85
	v_add_f16_e32 v84, v86, v84
	v_mul_f16_e32 v86, 0x3770, v28
	v_fma_f16 v87, v69, s6, v86
	v_add_f16_e32 v84, v87, v84
	v_mul_f16_e32 v87, 0xbbf1, v32
	;; [unrolled: 3-line block ×4, first 2 shown]
	v_fma_f16 v90, v75, s7, v89
	v_add_f16_e32 v84, v90, v84
	v_mul_f16_sdwa v90, v26, s9 dst_sel:DWORD dst_unused:UNUSED_PAD src0_sel:WORD_1 src1_sel:DWORD
	v_fma_f16 v91, v29, s15, -v90
	v_mul_f16_sdwa v92, v27, s23 dst_sel:DWORD dst_unused:UNUSED_PAD src0_sel:WORD_1 src1_sel:DWORD
	v_add_f16_e32 v91, v9, v91
	v_fma_f16 v93, v30, s17, -v92
	v_add_f16_e32 v91, v93, v91
	v_mul_f16_sdwa v93, v28, s20 dst_sel:DWORD dst_unused:UNUSED_PAD src0_sel:WORD_1 src1_sel:DWORD
	v_fma_f16 v94, v31, s6, -v93
	v_add_f16_e32 v91, v94, v91
	v_mul_f16_sdwa v94, v32, s22 dst_sel:DWORD dst_unused:UNUSED_PAD src0_sel:WORD_1 src1_sel:DWORD
	v_fma_f16 v95, v35, s8, -v94
	s_movk_i32 s22, 0x33a8
	v_add_f16_e32 v91, v95, v91
	v_mul_f16_sdwa v95, v34, s22 dst_sel:DWORD dst_unused:UNUSED_PAD src0_sel:WORD_1 src1_sel:DWORD
	v_fma_f16 v96, v36, s18, -v95
	s_movk_i32 s23, 0x3a95
	v_add_f16_e32 v91, v96, v91
	v_mul_f16_sdwa v96, v37, s23 dst_sel:DWORD dst_unused:UNUSED_PAD src0_sel:WORD_1 src1_sel:DWORD
	v_fma_f16 v97, v40, s7, -v96
	v_add_f16_e32 v91, v97, v91
	v_mul_f16_e32 v97, 0xb94e, v26
	v_fma_f16 v98, v64, s17, v97
	v_mul_f16_e32 v99, 0x3bf1, v27
	v_add_f16_sdwa v98, v9, v98 dst_sel:DWORD dst_unused:UNUSED_PAD src0_sel:WORD_1 src1_sel:DWORD
	v_fma_f16 v100, v67, s8, v99
	v_add_f16_e32 v98, v100, v98
	v_mul_f16_e32 v100, 0xba95, v28
	v_fma_f16 v101, v69, s7, v100
	v_add_f16_e32 v98, v101, v98
	v_mul_f16_e32 v101, 0x33a8, v32
	;; [unrolled: 3-line block ×4, first 2 shown]
	v_fma_f16 v104, v75, s15, v103
	v_pk_add_f16 v10, v9, v10
	v_add_f16_e32 v98, v104, v98
	v_mul_f16_sdwa v104, v26, s14 dst_sel:DWORD dst_unused:UNUSED_PAD src0_sel:WORD_1 src1_sel:DWORD
	v_pk_add_f16 v10, v10, v11
	v_fma_f16 v105, v29, s17, -v104
	v_mul_f16_sdwa v106, v27, s19 dst_sel:DWORD dst_unused:UNUSED_PAD src0_sel:WORD_1 src1_sel:DWORD
	v_pk_add_f16 v10, v10, v12
	v_add_f16_e32 v105, v9, v105
	v_fma_f16 v107, v30, s8, -v106
	v_pk_add_f16 v10, v10, v15
	v_add_f16_e32 v105, v107, v105
	v_mul_f16_sdwa v107, v28, s21 dst_sel:DWORD dst_unused:UNUSED_PAD src0_sel:WORD_1 src1_sel:DWORD
	v_fma_f16 v63, v64, s8, -v63
	s_mov_b32 s21, 0xffff
	v_pk_add_f16 v10, v10, v16
	v_fma_f16 v97, v64, s17, -v97
	v_fma_f16 v83, v64, s15, -v83
	;; [unrolled: 1-line block ×3, first 2 shown]
	v_add_f16_sdwa v63, v9, v63 dst_sel:DWORD dst_unused:UNUSED_PAD src0_sel:WORD_1 src1_sel:DWORD
	v_bfi_b32 v38, s21, v39, v38
	v_pk_add_f16 v10, v10, v19
	v_add_f16_sdwa v97, v9, v97 dst_sel:DWORD dst_unused:UNUSED_PAD src0_sel:WORD_1 src1_sel:DWORD
	v_fma_f16 v99, v67, s8, -v99
	v_add_f16_sdwa v83, v9, v83 dst_sel:DWORD dst_unused:UNUSED_PAD src0_sel:WORD_1 src1_sel:DWORD
	v_fma_f16 v85, v67, s17, -v85
	v_add_f16_e32 v63, v64, v63
	v_fma_f16 v64, v69, s15, -v68
	v_bfi_b32 v39, s21, v42, v41
	v_pk_add_f16 v10, v10, v20
	v_pk_add_f16 v11, v9, v38
	v_add_f16_e32 v97, v99, v97
	v_fma_f16 v99, v69, s7, -v100
	v_add_f16_e32 v83, v85, v83
	v_fma_f16 v85, v69, s6, -v86
	v_add_f16_e32 v63, v64, v63
	v_fma_f16 v64, v71, s6, -v70
	v_bfi_b32 v41, s21, v44, v43
	v_pk_add_f16 v10, v10, v17
	v_pk_add_f16 v11, v39, v11
	v_add_f16_e32 v97, v99, v97
	v_fma_f16 v99, v71, s18, -v101
	v_add_f16_e32 v83, v85, v83
	;; [unrolled: 9-line block ×3, first 2 shown]
	v_fma_f16 v85, v73, s18, -v88
	v_add_f16_e32 v63, v64, v63
	v_fma_f16 v64, v75, s17, -v74
	v_bfi_b32 v43, s21, v48, v47
	v_pk_add_f16 v10, v10, v13
	v_pk_add_f16 v11, v42, v11
	v_fma_f16 v108, v31, s7, -v107
	v_add_f16_e32 v97, v99, v97
	v_fma_f16 v99, v75, s15, -v103
	v_add_f16_e32 v83, v85, v83
	;; [unrolled: 2-line block ×3, first 2 shown]
	v_fma_f16 v64, v29, s8, v76
	v_bfi_b32 v44, s21, v50, v49
	v_pk_add_f16 v10, v10, v14
	v_pk_add_f16 v11, v43, v11
	v_add_f16_e32 v105, v108, v105
	v_mul_f16_sdwa v108, v32, s22 dst_sel:DWORD dst_unused:UNUSED_PAD src0_sel:WORD_1 src1_sel:DWORD
	v_add_f16_e32 v97, v99, v97
	v_fma_f16 v99, v29, s17, v104
	v_add_f16_e32 v83, v85, v83
	v_fma_f16 v85, v29, s15, v90
	v_add_f16_e32 v64, v9, v64
	v_fma_f16 v66, v30, s18, v78
	v_bfi_b32 v51, s21, v52, v51
	v_mad_u32_u24 v45, v5, 48, v0
	v_pk_add_f16 v10, v10, v33
	v_pk_add_f16 v11, v44, v11
	v_fma_f16 v109, v35, s18, -v108
	v_add_f16_e32 v99, v9, v99
	v_fma_f16 v100, v30, s8, v106
	v_add_f16_e32 v85, v9, v85
	v_fma_f16 v86, v30, s17, v92
	;; [unrolled: 2-line block ×3, first 2 shown]
	v_bfi_b32 v52, s21, v54, v53
	ds_write2_b32 v45, v10, v11 offset1:1
	v_pk_add_f16 v10, v9, v51
	v_add_f16_e32 v105, v109, v105
	v_mul_f16_sdwa v109, v34, s20 dst_sel:DWORD dst_unused:UNUSED_PAD src0_sel:WORD_1 src1_sel:DWORD
	v_add_f16_e32 v99, v100, v99
	v_fma_f16 v100, v31, s7, v107
	v_add_f16_e32 v85, v86, v85
	v_fma_f16 v86, v31, s6, v93
	;; [unrolled: 2-line block ×3, first 2 shown]
	v_bfi_b32 v53, s21, v56, v55
	v_pk_add_f16 v10, v52, v10
	v_fma_f16 v110, v36, s6, -v109
	v_add_f16_e32 v99, v100, v99
	v_fma_f16 v100, v35, s18, v108
	v_add_f16_e32 v85, v86, v85
	v_fma_f16 v86, v35, s8, v94
	;; [unrolled: 2-line block ×3, first 2 shown]
	v_bfi_b32 v54, s21, v58, v57
	v_pk_add_f16 v10, v53, v10
	v_add_f16_e32 v105, v110, v105
	v_mul_f16_sdwa v110, v37, s9 dst_sel:DWORD dst_unused:UNUSED_PAD src0_sel:WORD_1 src1_sel:DWORD
	v_add_f16_e32 v99, v100, v99
	v_fma_f16 v100, v36, s6, v109
	v_add_f16_e32 v85, v86, v85
	v_fma_f16 v86, v36, s18, v95
	;; [unrolled: 2-line block ×3, first 2 shown]
	v_bfi_b32 v55, s21, v60, v59
	v_pk_add_f16 v10, v54, v10
	v_add_f16_e32 v99, v100, v99
	v_fma_f16 v100, v40, s15, v110
	v_add_f16_e32 v85, v86, v85
	v_fma_f16 v86, v40, s7, v96
	v_add_f16_e32 v64, v66, v64
	v_bfi_b32 v56, s21, v62, v61
	v_pk_add_f16 v10, v55, v10
	v_add_f16_e32 v99, v100, v99
	v_add_f16_e32 v85, v86, v85
	v_pk_add_f16 v10, v56, v10
	v_pack_b32_f16 v11, v64, v63
	ds_write2_b32 v45, v10, v11 offset0:2 offset1:3
	v_pack_b32_f16 v10, v99, v97
	v_pack_b32_f16 v11, v85, v83
	ds_write2_b32 v45, v11, v10 offset0:4 offset1:5
	v_pk_mul_f16 v10, v29, s18 op_sel_hi:[1,0]
	v_pk_fma_f16 v11, v26, s16, v10 op_sel:[0,0,1] op_sel_hi:[1,0,0]
	v_alignbit_b32 v12, s0, v9, 16
	v_pk_mul_f16 v13, v30, s6 op_sel_hi:[1,0]
	v_pk_add_f16 v12, v12, v11
	v_pk_fma_f16 v14, v27, s20, v13 op_sel:[0,0,1] op_sel_hi:[1,0,0]
	v_pk_mul_f16 v15, v31, s17 op_sel_hi:[1,0]
	v_pk_fma_f16 v10, v26, s16, v10 op_sel:[0,0,1] op_sel_hi:[1,0,0] neg_lo:[1,0,0] neg_hi:[1,0,0]
	v_alignbit_b32 v11, s0, v11, 16
	v_pk_fma_f16 v16, v28, s14, v15 op_sel:[0,0,1] op_sel_hi:[1,0,0]
	v_pk_mul_f16 v17, v35, s7 op_sel_hi:[1,0]
	v_pk_add_f16 v10, v9, v10 op_sel:[1,0] op_sel_hi:[0,1]
	v_pk_fma_f16 v13, v27, s20, v13 op_sel:[0,0,1] op_sel_hi:[1,0,0] neg_lo:[1,0,0] neg_hi:[1,0,0]
	v_pk_add_f16 v9, v9, v11
	v_alignbit_b32 v11, s0, v14, 16
	v_pk_add_f16 v12, v14, v12
	v_pk_fma_f16 v18, v32, s23, v17 op_sel:[0,0,1] op_sel_hi:[1,0,0]
	v_pk_mul_f16 v19, v36, s15 op_sel_hi:[1,0]
	v_pk_add_f16 v10, v13, v10
	v_pk_fma_f16 v13, v28, s14, v15 op_sel:[0,0,1] op_sel_hi:[1,0,0] neg_lo:[1,0,0] neg_hi:[1,0,0]
	v_pk_add_f16 v9, v11, v9
	v_alignbit_b32 v11, s0, v16, 16
	v_pk_add_f16 v12, v16, v12
	v_pk_fma_f16 v20, v34, s9, v19 op_sel:[0,0,1] op_sel_hi:[1,0,0]
	v_pk_mul_f16 v29, v40, s8 op_sel_hi:[1,0]
	v_pk_add_f16 v10, v13, v10
	v_pk_fma_f16 v13, v32, s23, v17 op_sel:[0,0,1] op_sel_hi:[1,0,0] neg_lo:[1,0,0] neg_hi:[1,0,0]
	v_pk_add_f16 v9, v11, v9
	v_alignbit_b32 v11, s0, v18, 16
	v_pk_add_f16 v12, v18, v12
	v_pk_fma_f16 v30, v37, s19, v29 op_sel:[0,0,1] op_sel_hi:[1,0,0]
	v_pk_add_f16 v10, v13, v10
	v_pk_fma_f16 v13, v34, s9, v19 op_sel:[0,0,1] op_sel_hi:[1,0,0] neg_lo:[1,0,0] neg_hi:[1,0,0]
	v_pk_add_f16 v9, v11, v9
	v_alignbit_b32 v11, s0, v20, 16
	v_pk_add_f16 v12, v20, v12
	v_pk_add_f16 v10, v13, v10
	v_pk_fma_f16 v13, v37, s19, v29 op_sel:[0,0,1] op_sel_hi:[1,0,0] neg_lo:[1,0,0] neg_hi:[1,0,0]
	v_pk_add_f16 v9, v11, v9
	v_alignbit_b32 v11, s0, v30, 16
	v_fma_f16 v111, v40, s15, -v110
	v_pk_add_f16 v12, v30, v12
	v_pk_add_f16 v10, v13, v10
	;; [unrolled: 1-line block ×3, first 2 shown]
	v_add_f16_e32 v105, v111, v105
	v_alignbit_b32 v11, v12, v10, 16
	v_pack_b32_f16 v9, v9, v10
	ds_write2_b32 v45, v9, v11 offset0:6 offset1:7
	v_pack_b32_f16 v9, v91, v84
	v_pack_b32_f16 v10, v105, v98
	s_mov_b32 s6, 0x5040100
	ds_write2_b32 v45, v10, v9 offset0:8 offset1:9
	v_pack_b32_f16 v9, v77, v65
	v_perm_b32 v10, v23, v7, s6
	ds_write2_b32 v45, v9, v10 offset0:10 offset1:11
	v_perm_b32 v9, v22, v8, s6
	ds_write_b32 v45, v9 offset:48
.LBB0_15:
	s_or_b64 exec, exec, s[4:5]
	s_movk_i32 s4, 0x4f
	v_mul_lo_u16_sdwa v9, v5, s4 dst_sel:DWORD dst_unused:UNUSED_PAD src0_sel:BYTE_0 src1_sel:DWORD
	v_lshrrev_b16_e32 v20, 10, v9
	v_mul_lo_u16_e32 v9, 13, v20
	v_sub_u16_e32 v36, v5, v9
	v_mov_b32_e32 v9, 10
	v_mul_u32_u24_sdwa v9, v36, v9 dst_sel:DWORD dst_unused:UNUSED_PAD src0_sel:BYTE_0 src1_sel:DWORD
	v_lshlrev_b32_e32 v9, 2, v9
	s_load_dwordx2 s[2:3], s[2:3], 0x0
	s_waitcnt lgkmcnt(0)
	s_barrier
	global_load_dwordx4 v[10:13], v9, s[12:13]
	global_load_dwordx4 v[14:17], v9, s[12:13] offset:16
	global_load_dwordx2 v[18:19], v9, s[12:13] offset:32
	ds_read2_b32 v[26:27], v0 offset1:104
	ds_read2_b32 v[28:29], v6 offset0:80 offset1:184
	v_add_u32_e32 v9, 0x600, v0
	ds_read2_b32 v[30:31], v25 offset0:112 offset1:216
	ds_read2_b32 v[32:33], v24 offset0:64 offset1:168
	ds_read_b32 v6, v0 offset:4160
	ds_read2_b32 v[34:35], v9 offset0:32 offset1:136
	s_waitcnt lgkmcnt(5)
	v_lshrrev_b32_e32 v42, 16, v27
	s_waitcnt lgkmcnt(3)
	v_lshrrev_b32_e32 v38, 16, v31
	v_lshrrev_b32_e32 v43, 16, v28
	;; [unrolled: 1-line block ×4, first 2 shown]
	s_waitcnt lgkmcnt(0)
	v_lshrrev_b32_e32 v45, 16, v34
	v_lshrrev_b32_e32 v46, 16, v35
	;; [unrolled: 1-line block ×5, first 2 shown]
	s_mov_b32 s4, 0xb853
	s_movk_i32 s5, 0x3abb
	s_movk_i32 s15, 0x3853
	s_mov_b32 s7, 0xbb47
	s_movk_i32 s8, 0x36a6
	s_movk_i32 s9, 0x3b47
	s_mov_b32 s6, 0xbbeb
	s_mov_b32 s14, 0xb08e
	s_movk_i32 s16, 0x3beb
	s_mov_b32 s17, 0xba0c
	s_mov_b32 s18, 0xb93d
	;; [unrolled: 3-line block ×3, first 2 shown]
	s_movk_i32 s22, 0x3482
	s_waitcnt vmcnt(0)
	s_barrier
	v_cmp_gt_u32_e32 vcc, 39, v5
	v_mul_f16_sdwa v47, v10, v42 dst_sel:DWORD dst_unused:UNUSED_PAD src0_sel:WORD_1 src1_sel:DWORD
	v_mul_f16_sdwa v48, v10, v27 dst_sel:DWORD dst_unused:UNUSED_PAD src0_sel:WORD_1 src1_sel:DWORD
	;; [unrolled: 1-line block ×4, first 2 shown]
	v_mul_f16_sdwa v59, v38, v16 dst_sel:DWORD dst_unused:UNUSED_PAD src0_sel:DWORD src1_sel:WORD_1
	v_mul_f16_sdwa v60, v31, v16 dst_sel:DWORD dst_unused:UNUSED_PAD src0_sel:DWORD src1_sel:WORD_1
	v_fma_f16 v27, v10, v27, v47
	v_fma_f16 v10, v10, v42, -v48
	v_mul_f16_sdwa v51, v12, v44 dst_sel:DWORD dst_unused:UNUSED_PAD src0_sel:WORD_1 src1_sel:DWORD
	v_mul_f16_sdwa v52, v12, v29 dst_sel:DWORD dst_unused:UNUSED_PAD src0_sel:WORD_1 src1_sel:DWORD
	v_mul_f16_sdwa v57, v37, v15 dst_sel:DWORD dst_unused:UNUSED_PAD src0_sel:DWORD src1_sel:WORD_1
	v_mul_f16_sdwa v58, v30, v15 dst_sel:DWORD dst_unused:UNUSED_PAD src0_sel:DWORD src1_sel:WORD_1
	v_fma_f16 v28, v11, v28, v49
	v_fma_f16 v11, v11, v43, -v50
	v_fma_f16 v31, v31, v16, v59
	v_fma_f16 v16, v38, v16, -v60
	v_add_f16_sdwa v38, v10, v26 dst_sel:DWORD dst_unused:UNUSED_PAD src0_sel:DWORD src1_sel:WORD_1
	v_mul_f16_sdwa v53, v13, v45 dst_sel:DWORD dst_unused:UNUSED_PAD src0_sel:WORD_1 src1_sel:DWORD
	v_mul_f16_sdwa v54, v13, v34 dst_sel:DWORD dst_unused:UNUSED_PAD src0_sel:WORD_1 src1_sel:DWORD
	v_fma_f16 v29, v12, v29, v51
	v_fma_f16 v12, v12, v44, -v52
	v_fma_f16 v30, v30, v15, v57
	v_fma_f16 v15, v37, v15, -v58
	v_add_f16_e32 v37, v27, v26
	v_add_f16_e32 v38, v38, v11
	v_mul_f16_sdwa v55, v14, v46 dst_sel:DWORD dst_unused:UNUSED_PAD src0_sel:WORD_1 src1_sel:DWORD
	v_mul_f16_sdwa v56, v14, v35 dst_sel:DWORD dst_unused:UNUSED_PAD src0_sel:WORD_1 src1_sel:DWORD
	v_fma_f16 v34, v13, v34, v53
	v_fma_f16 v13, v13, v45, -v54
	v_add_f16_e32 v37, v37, v28
	v_add_f16_e32 v38, v38, v12
	v_fma_f16 v35, v14, v35, v55
	v_fma_f16 v14, v14, v46, -v56
	v_add_f16_e32 v37, v37, v29
	v_add_f16_e32 v38, v38, v13
	;; [unrolled: 1-line block ×4, first 2 shown]
	v_mul_f16_sdwa v61, v39, v17 dst_sel:DWORD dst_unused:UNUSED_PAD src0_sel:DWORD src1_sel:WORD_1
	v_mul_f16_sdwa v62, v32, v17 dst_sel:DWORD dst_unused:UNUSED_PAD src0_sel:DWORD src1_sel:WORD_1
	v_add_f16_e32 v37, v37, v35
	v_add_f16_e32 v38, v38, v15
	v_mul_f16_sdwa v63, v40, v18 dst_sel:DWORD dst_unused:UNUSED_PAD src0_sel:DWORD src1_sel:WORD_1
	v_mul_f16_sdwa v64, v33, v18 dst_sel:DWORD dst_unused:UNUSED_PAD src0_sel:DWORD src1_sel:WORD_1
	;; [unrolled: 1-line block ×4, first 2 shown]
	v_fma_f16 v32, v32, v17, v61
	v_fma_f16 v17, v39, v17, -v62
	v_add_f16_e32 v37, v37, v30
	v_add_f16_e32 v38, v38, v16
	v_fma_f16 v33, v33, v18, v63
	v_fma_f16 v18, v40, v18, -v64
	v_fma_f16 v6, v6, v19, v65
	v_fma_f16 v19, v41, v19, -v66
	v_add_f16_e32 v37, v37, v31
	v_add_f16_e32 v38, v38, v17
	;; [unrolled: 1-line block ×3, first 2 shown]
	v_sub_f16_e32 v10, v10, v19
	v_add_f16_e32 v37, v37, v32
	v_add_f16_e32 v38, v38, v18
	;; [unrolled: 1-line block ×3, first 2 shown]
	v_sub_f16_e32 v27, v27, v6
	v_mul_f16_e32 v41, 0xb853, v10
	v_add_f16_e32 v37, v37, v33
	v_add_f16_e32 v19, v38, v19
	v_mul_f16_e32 v38, 0x3abb, v40
	v_mul_f16_e32 v43, 0xbb47, v10
	;; [unrolled: 1-line block ×9, first 2 shown]
	v_add_f16_e32 v37, v37, v6
	v_fma_f16 v6, v39, s5, v41
	v_fma_f16 v42, v27, s15, v38
	v_fma_f16 v41, v39, s5, -v41
	v_fma_f16 v38, v27, s4, v38
	v_fma_f16 v44, v39, s8, v43
	v_fma_f16 v46, v27, s9, v45
	v_fma_f16 v43, v39, s8, -v43
	v_fma_f16 v45, v27, s7, v45
	v_fma_f16 v48, v39, s14, v47
	v_fma_f16 v50, v27, s16, v49
	v_fma_f16 v47, v39, s14, -v47
	v_fma_f16 v49, v27, s6, v49
	v_fma_f16 v52, v39, s18, v51
	v_fma_f16 v54, v27, s19, v53
	v_fma_f16 v51, v39, s18, -v51
	v_fma_f16 v53, v27, s17, v53
	v_fma_f16 v55, v39, s21, v10
	v_fma_f16 v56, v27, s22, v40
	v_fma_f16 v10, v39, s21, -v10
	v_fma_f16 v27, v27, s20, v40
	v_add_f16_e32 v39, v11, v18
	v_sub_f16_e32 v11, v11, v18
	v_add_f16_e32 v6, v6, v26
	v_add_f16_sdwa v42, v42, v26 dst_sel:DWORD dst_unused:UNUSED_PAD src0_sel:DWORD src1_sel:WORD_1
	v_add_f16_e32 v41, v41, v26
	v_add_f16_sdwa v38, v38, v26 dst_sel:DWORD dst_unused:UNUSED_PAD src0_sel:DWORD src1_sel:WORD_1
	;; [unrolled: 2-line block ×10, first 2 shown]
	v_add_f16_e32 v27, v28, v33
	v_mul_f16_e32 v18, 0xbb47, v11
	v_sub_f16_e32 v28, v28, v33
	v_fma_f16 v33, v27, s8, v18
	v_add_f16_e32 v6, v33, v6
	v_mul_f16_e32 v33, 0x36a6, v39
	v_fma_f16 v40, v28, s9, v33
	v_fma_f16 v33, v28, s7, v33
	v_fma_f16 v18, v27, s8, -v18
	v_add_f16_e32 v33, v33, v38
	v_mul_f16_e32 v38, 0xba0c, v11
	v_add_f16_e32 v40, v40, v42
	v_add_f16_e32 v18, v18, v41
	v_fma_f16 v41, v27, s18, v38
	v_mul_f16_e32 v42, 0xb93d, v39
	v_fma_f16 v38, v27, s18, -v38
	v_add_f16_e32 v41, v41, v44
	v_fma_f16 v44, v28, s19, v42
	v_add_f16_e32 v38, v38, v43
	v_fma_f16 v42, v28, s17, v42
	v_mul_f16_e32 v43, 0x3482, v11
	v_add_f16_e32 v44, v44, v46
	v_add_f16_e32 v42, v42, v45
	v_fma_f16 v45, v27, s21, v43
	v_mul_f16_e32 v46, 0xbbad, v39
	v_fma_f16 v43, v27, s21, -v43
	v_add_f16_e32 v45, v45, v48
	v_fma_f16 v48, v28, s20, v46
	v_add_f16_e32 v43, v43, v47
	v_fma_f16 v46, v28, s22, v46
	v_mul_f16_e32 v47, 0x3beb, v11
	v_add_f16_e32 v46, v46, v49
	v_fma_f16 v49, v27, s14, v47
	v_fma_f16 v47, v27, s14, -v47
	v_mul_f16_e32 v11, 0x3853, v11
	v_add_f16_e32 v48, v48, v50
	v_mul_f16_e32 v50, 0xb08e, v39
	v_add_f16_e32 v47, v47, v51
	v_fma_f16 v51, v27, s5, v11
	v_mul_f16_e32 v39, 0x3abb, v39
	v_fma_f16 v11, v27, s5, -v11
	v_add_f16_e32 v10, v11, v10
	v_fma_f16 v11, v28, s15, v39
	v_add_f16_e32 v27, v12, v17
	v_sub_f16_e32 v12, v12, v17
	v_add_f16_e32 v49, v49, v52
	v_fma_f16 v52, v28, s6, v50
	v_fma_f16 v50, v28, s16, v50
	v_add_f16_e32 v11, v11, v26
	v_add_f16_e32 v26, v29, v32
	v_mul_f16_e32 v17, 0xbbeb, v12
	v_add_f16_e32 v50, v50, v53
	v_fma_f16 v53, v28, s4, v39
	v_sub_f16_e32 v28, v29, v32
	v_fma_f16 v29, v26, s14, v17
	v_add_f16_e32 v6, v29, v6
	v_mul_f16_e32 v29, 0xb08e, v27
	v_fma_f16 v17, v26, s14, -v17
	v_fma_f16 v32, v28, s16, v29
	v_add_f16_e32 v17, v17, v18
	v_fma_f16 v18, v28, s6, v29
	v_mul_f16_e32 v29, 0x3482, v12
	v_add_f16_e32 v18, v18, v33
	v_fma_f16 v33, v26, s21, v29
	v_mul_f16_e32 v39, 0xbbad, v27
	v_fma_f16 v29, v26, s21, -v29
	v_add_f16_e32 v32, v32, v40
	v_fma_f16 v40, v28, s20, v39
	v_add_f16_e32 v29, v29, v38
	v_fma_f16 v38, v28, s22, v39
	v_mul_f16_e32 v39, 0x3b47, v12
	v_add_f16_e32 v33, v33, v41
	v_fma_f16 v41, v26, s8, v39
	v_fma_f16 v39, v26, s8, -v39
	v_add_f16_e32 v38, v38, v42
	v_mul_f16_e32 v42, 0x36a6, v27
	v_add_f16_e32 v39, v39, v43
	v_mul_f16_e32 v43, 0xb853, v12
	v_add_f16_e32 v40, v40, v44
	v_add_f16_e32 v41, v41, v45
	v_fma_f16 v44, v28, s7, v42
	v_fma_f16 v42, v28, s9, v42
	;; [unrolled: 1-line block ×3, first 2 shown]
	v_fma_f16 v43, v26, s5, -v43
	v_mul_f16_e32 v12, 0xba0c, v12
	v_add_f16_e32 v42, v42, v46
	v_mul_f16_e32 v46, 0x3abb, v27
	v_add_f16_e32 v43, v43, v47
	v_fma_f16 v47, v26, s18, v12
	v_mul_f16_e32 v27, 0xb93d, v27
	v_fma_f16 v12, v26, s18, -v12
	v_add_f16_e32 v10, v12, v10
	v_fma_f16 v12, v28, s17, v27
	v_add_f16_e32 v26, v13, v16
	v_sub_f16_e32 v13, v13, v16
	v_add_f16_e32 v11, v12, v11
	v_add_f16_e32 v12, v34, v31
	v_mul_f16_e32 v16, 0xba0c, v13
	v_add_f16_e32 v44, v44, v48
	v_add_f16_e32 v45, v45, v49
	v_fma_f16 v48, v28, s15, v46
	v_fma_f16 v46, v28, s4, v46
	v_fma_f16 v49, v28, s19, v27
	v_fma_f16 v28, v12, s18, v16
	v_sub_f16_e32 v27, v34, v31
	v_add_f16_e32 v6, v28, v6
	v_mul_f16_e32 v28, 0xb93d, v26
	v_fma_f16 v16, v12, s18, -v16
	v_add_f16_e32 v16, v16, v17
	v_fma_f16 v17, v27, s17, v28
	v_fma_f16 v31, v27, s19, v28
	v_add_f16_e32 v17, v17, v18
	v_mul_f16_e32 v18, 0x3beb, v13
	v_add_f16_e32 v31, v31, v32
	v_fma_f16 v28, v12, s14, v18
	v_mul_f16_e32 v32, 0xb08e, v26
	v_fma_f16 v18, v12, s14, -v18
	v_add_f16_e32 v28, v28, v33
	v_fma_f16 v33, v27, s6, v32
	v_add_f16_e32 v18, v18, v29
	v_fma_f16 v29, v27, s16, v32
	v_mul_f16_e32 v32, 0xb853, v13
	v_fma_f16 v34, v12, s5, v32
	v_fma_f16 v32, v12, s5, -v32
	v_add_f16_e32 v29, v29, v38
	v_mul_f16_e32 v38, 0x3abb, v26
	v_add_f16_e32 v32, v32, v39
	v_mul_f16_e32 v39, 0xb482, v13
	v_add_f16_e32 v51, v51, v55
	v_add_f16_e32 v33, v33, v40
	;; [unrolled: 1-line block ×3, first 2 shown]
	v_fma_f16 v40, v27, s15, v38
	v_fma_f16 v38, v27, s4, v38
	;; [unrolled: 1-line block ×3, first 2 shown]
	v_fma_f16 v39, v12, s21, -v39
	v_mul_f16_e32 v13, 0x3b47, v13
	v_add_f16_e32 v47, v47, v51
	v_add_f16_e32 v38, v38, v42
	v_mul_f16_e32 v42, 0xbbad, v26
	v_add_f16_e32 v39, v39, v43
	v_fma_f16 v43, v12, s8, v13
	v_mul_f16_e32 v26, 0x36a6, v26
	v_fma_f16 v12, v12, s8, -v13
	v_add_f16_e32 v46, v46, v50
	v_add_f16_e32 v40, v40, v44
	v_fma_f16 v44, v27, s22, v42
	v_fma_f16 v42, v27, s20, v42
	v_add_f16_e32 v43, v43, v47
	v_add_f16_e32 v12, v12, v10
	v_fma_f16 v10, v27, s9, v26
	v_add_f16_e32 v47, v14, v15
	v_sub_f16_e32 v14, v14, v15
	v_add_f16_e32 v42, v42, v46
	v_add_f16_e32 v13, v10, v11
	v_add_f16_e32 v46, v35, v30
	v_mul_f16_e32 v10, 0xb482, v14
	v_fma_f16 v11, v46, s21, v10
	v_sub_f16_e32 v30, v35, v30
	v_add_f16_e32 v15, v11, v6
	v_mul_f16_e32 v11, 0xbbad, v47
	v_fma_f16 v6, v30, s22, v11
	v_add_f16_e32 v31, v6, v31
	v_fma_f16 v6, v46, s21, -v10
	v_fma_f16 v10, v30, s20, v11
	v_add_f16_e32 v41, v41, v45
	v_fma_f16 v45, v27, s7, v26
	v_add_f16_e32 v27, v10, v17
	v_mul_f16_e32 v10, 0x3853, v14
	v_fma_f16 v11, v46, s5, v10
	v_mul_f16_e32 v17, 0x3abb, v47
	v_add_f16_e32 v6, v6, v16
	v_add_f16_e32 v16, v11, v28
	v_fma_f16 v11, v30, s4, v17
	v_fma_f16 v10, v46, s5, -v10
	v_add_f16_e32 v33, v11, v33
	v_add_f16_e32 v11, v10, v18
	v_fma_f16 v10, v30, s15, v17
	v_mul_f16_e32 v18, 0xb93d, v47
	v_add_f16_e32 v28, v10, v29
	v_mul_f16_e32 v10, 0xba0c, v14
	v_fma_f16 v26, v30, s19, v18
	v_fma_f16 v18, v30, s17, v18
	;; [unrolled: 1-line block ×3, first 2 shown]
	v_add_f16_e32 v29, v26, v40
	v_fma_f16 v10, v46, s18, -v10
	v_add_f16_e32 v26, v18, v38
	v_mul_f16_e32 v18, 0x3b47, v14
	v_add_f16_e32 v10, v10, v32
	v_fma_f16 v32, v46, s8, v18
	v_fma_f16 v18, v46, s8, -v18
	v_mul_f16_e32 v14, 0xbbeb, v14
	v_add_f16_e32 v18, v18, v39
	v_fma_f16 v38, v46, s14, v14
	v_mul_f16_e32 v39, 0xb08e, v47
	v_fma_f16 v14, v46, s14, -v14
	v_add_f16_e32 v17, v17, v34
	v_mul_f16_e32 v34, 0x36a6, v47
	v_add_f16_e32 v12, v14, v12
	v_fma_f16 v14, v30, s6, v39
	v_add_f16_e32 v52, v52, v54
	v_add_f16_e32 v53, v53, v56
	v_fma_f16 v35, v30, s7, v34
	v_fma_f16 v34, v30, s9, v34
	v_add_f16_e32 v13, v14, v13
	v_mul_u32_u24_e32 v14, 0x23c, v20
	v_mov_b32_e32 v20, 2
	v_add_f16_e32 v48, v48, v52
	v_add_f16_e32 v49, v49, v53
	;; [unrolled: 1-line block ×3, first 2 shown]
	v_lshlrev_b32_sdwa v20, v20, v36 dst_sel:DWORD dst_unused:UNUSED_PAD src0_sel:DWORD src1_sel:BYTE_0
	v_add_f16_e32 v44, v44, v48
	v_add_f16_e32 v45, v45, v49
	v_fma_f16 v40, v30, s16, v39
	v_add3_u32 v14, 0, v14, v20
	v_pack_b32_f16 v19, v37, v19
	v_pack_b32_f16 v15, v15, v31
	;; [unrolled: 1-line block ×4, first 2 shown]
	v_add_f16_e32 v32, v32, v41
	v_add_f16_e32 v35, v35, v44
	;; [unrolled: 1-line block ×4, first 2 shown]
	ds_write2_b32 v14, v19, v15 offset1:13
	v_pack_b32_f16 v15, v16, v33
	v_pack_b32_f16 v16, v17, v29
	ds_write2_b32 v14, v12, v13 offset0:78 offset1:91
	v_pack_b32_f16 v12, v10, v26
	v_pack_b32_f16 v13, v11, v28
	ds_write2_b32 v14, v15, v16 offset0:26 offset1:39
	;; [unrolled: 3-line block ×3, first 2 shown]
	v_pack_b32_f16 v12, v6, v27
	ds_write2_b32 v14, v15, v16 offset0:52 offset1:65
	ds_write_b32 v14, v12 offset:520
	s_waitcnt lgkmcnt(0)
	s_barrier
	ds_read2_b32 v[14:15], v0 offset1:143
	ds_read2_b32 v[20:21], v21 offset0:30 offset1:173
	ds_read2_b32 v[18:19], v25 offset0:60 offset1:203
	;; [unrolled: 1-line block ×3, first 2 shown]
                                        ; implicit-def: $vgpr24
                                        ; implicit-def: $vgpr29
                                        ; implicit-def: $vgpr12
                                        ; implicit-def: $vgpr25
	s_and_saveexec_b64 s[4:5], vcc
	s_cbranch_execz .LBB0_17
; %bb.16:
	v_add_u32_e32 v8, 0xa00, v0
	v_add_u32_e32 v12, 0xe00, v0
	ds_read2_b32 v[10:11], v0 offset0:104 offset1:247
	ds_read2_b32 v[6:7], v9 offset0:6 offset1:149
	;; [unrolled: 1-line block ×4, first 2 shown]
	s_waitcnt lgkmcnt(3)
	v_lshrrev_b32_e32 v26, 16, v10
	s_waitcnt lgkmcnt(2)
	v_lshrrev_b32_e32 v27, 16, v6
	v_lshrrev_b32_e32 v23, 16, v7
	s_waitcnt lgkmcnt(1)
	v_lshrrev_b32_e32 v22, 16, v8
	;; [unrolled: 3-line block ×3, first 2 shown]
	v_lshrrev_b32_e32 v25, 16, v13
	v_lshrrev_b32_e32 v28, 16, v11
.LBB0_17:
	s_or_b64 exec, exec, s[4:5]
	v_mul_u32_u24_e32 v30, 7, v5
	v_lshlrev_b32_e32 v37, 2, v30
	global_load_dwordx4 v[30:33], v37, s[12:13] offset:520
	global_load_dwordx3 v[34:36], v37, s[12:13] offset:536
	s_waitcnt lgkmcnt(0)
	v_lshrrev_b32_e32 v38, 16, v17
	v_lshrrev_b32_e32 v39, 16, v16
	;; [unrolled: 1-line block ×8, first 2 shown]
	s_mov_b32 s6, 0xb9a8
	s_movk_i32 s7, 0x39a8
	s_waitcnt vmcnt(0)
	s_barrier
	v_mul_f16_sdwa v45, v30, v44 dst_sel:DWORD dst_unused:UNUSED_PAD src0_sel:WORD_1 src1_sel:DWORD
	v_mul_f16_sdwa v46, v30, v15 dst_sel:DWORD dst_unused:UNUSED_PAD src0_sel:WORD_1 src1_sel:DWORD
	;; [unrolled: 1-line block ×14, first 2 shown]
	v_fma_f16 v15, v30, v15, v45
	v_fma_f16 v30, v30, v44, -v46
	v_fma_f16 v20, v31, v20, v47
	v_fma_f16 v31, v31, v43, -v48
	;; [unrolled: 2-line block ×7, first 2 shown]
	v_sub_f16_e32 v18, v14, v18
	v_sub_f16_e32 v33, v37, v33
	;; [unrolled: 1-line block ×8, first 2 shown]
	v_fma_f16 v14, v14, 2.0, -v18
	v_fma_f16 v37, v37, 2.0, -v33
	v_fma_f16 v20, v20, 2.0, -v16
	v_fma_f16 v31, v31, 2.0, -v35
	v_fma_f16 v15, v15, 2.0, -v19
	v_fma_f16 v30, v30, 2.0, -v34
	v_fma_f16 v21, v21, 2.0, -v17
	v_fma_f16 v32, v32, 2.0, -v36
	v_add_f16_e32 v35, v18, v35
	v_sub_f16_e32 v16, v33, v16
	v_add_f16_e32 v36, v19, v36
	v_sub_f16_e32 v17, v34, v17
	v_sub_f16_e32 v20, v14, v20
	v_sub_f16_e32 v31, v37, v31
	v_fma_f16 v18, v18, 2.0, -v35
	v_fma_f16 v33, v33, 2.0, -v16
	v_sub_f16_e32 v21, v15, v21
	v_sub_f16_e32 v32, v30, v32
	v_fma_f16 v19, v19, 2.0, -v36
	v_fma_f16 v34, v34, 2.0, -v17
	;; [unrolled: 1-line block ×6, first 2 shown]
	v_fma_f16 v40, v19, s6, v18
	v_fma_f16 v41, v34, s6, v33
	;; [unrolled: 1-line block ×4, first 2 shown]
	v_sub_f16_e32 v15, v14, v15
	v_sub_f16_e32 v30, v37, v30
	v_fma_f16 v34, v34, s7, v40
	v_fma_f16 v19, v19, s6, v41
	v_add_f16_e32 v32, v20, v32
	v_sub_f16_e32 v21, v31, v21
	v_fma_f16 v14, v14, 2.0, -v15
	v_fma_f16 v37, v37, 2.0, -v30
	v_fma_f16 v18, v18, 2.0, -v34
	v_fma_f16 v33, v33, 2.0, -v19
	v_fma_f16 v17, v17, s7, v38
	v_fma_f16 v36, v36, s6, v39
	v_fma_f16 v20, v20, 2.0, -v32
	v_fma_f16 v31, v31, 2.0, -v21
	;; [unrolled: 1-line block ×4, first 2 shown]
	v_pack_b32_f16 v14, v14, v37
	v_pack_b32_f16 v18, v18, v33
	ds_write2_b32 v0, v14, v18 offset1:143
	v_pack_b32_f16 v14, v20, v31
	v_pack_b32_f16 v16, v35, v16
	v_add_u32_e32 v18, 0x400, v0
	ds_write2_b32 v18, v14, v16 offset0:30 offset1:173
	v_pack_b32_f16 v14, v15, v30
	v_pack_b32_f16 v15, v34, v19
	v_add_u32_e32 v16, 0x800, v0
	ds_write2_b32 v16, v14, v15 offset0:60 offset1:203
	;; [unrolled: 4-line block ×3, first 2 shown]
	s_and_saveexec_b64 s[4:5], vcc
	s_cbranch_execz .LBB0_19
; %bb.18:
	v_add_u32_e32 v14, 0x68, v5
	v_subrev_u32_e32 v15, 39, v5
	v_cndmask_b32_e32 v14, v15, v14, vcc
	v_mul_i32_i24_e32 v14, 7, v14
	v_mov_b32_e32 v15, 0
	v_lshlrev_b64 v[14:15], 2, v[14:15]
	v_mov_b32_e32 v16, s13
	v_add_co_u32_e32 v30, vcc, s12, v14
	v_addc_co_u32_e32 v31, vcc, v16, v15, vcc
	global_load_dwordx4 v[14:17], v[30:31], off offset:520
	global_load_dwordx3 v[18:20], v[30:31], off offset:536
	s_waitcnt vmcnt(1)
	v_mul_f16_sdwa v21, v22, v17 dst_sel:DWORD dst_unused:UNUSED_PAD src0_sel:DWORD src1_sel:WORD_1
	v_mul_f16_sdwa v30, v6, v15 dst_sel:DWORD dst_unused:UNUSED_PAD src0_sel:DWORD src1_sel:WORD_1
	s_waitcnt vmcnt(0)
	v_mul_f16_sdwa v31, v12, v19 dst_sel:DWORD dst_unused:UNUSED_PAD src0_sel:DWORD src1_sel:WORD_1
	v_mul_f16_sdwa v32, v11, v14 dst_sel:DWORD dst_unused:UNUSED_PAD src0_sel:DWORD src1_sel:WORD_1
	;; [unrolled: 1-line block ×12, first 2 shown]
	v_fma_f16 v8, v8, v17, v21
	v_fma_f16 v21, v27, v15, -v30
	v_fma_f16 v27, v29, v19, -v31
	;; [unrolled: 1-line block ×4, first 2 shown]
	v_fma_f16 v7, v7, v16, v34
	v_fma_f16 v13, v13, v20, v35
	v_fma_f16 v11, v11, v14, v36
	v_fma_f16 v9, v9, v18, v37
	v_fma_f16 v14, v23, v16, -v38
	v_fma_f16 v16, v25, v20, -v39
	;; [unrolled: 1-line block ×3, first 2 shown]
	v_fma_f16 v6, v6, v15, v41
	v_fma_f16 v12, v12, v19, v42
	v_sub_f16_e32 v8, v10, v8
	v_sub_f16_e32 v15, v21, v27
	;; [unrolled: 1-line block ×8, first 2 shown]
	v_add_f16_e32 v19, v8, v15
	v_sub_f16_e32 v20, v18, v13
	v_add_f16_e32 v22, v9, v16
	v_sub_f16_e32 v23, v17, v12
	v_fma_f16 v10, v10, 2.0, -v8
	v_fma_f16 v6, v6, 2.0, -v12
	;; [unrolled: 1-line block ×8, first 2 shown]
	v_fma_f16 v13, v22, s7, v19
	v_fma_f16 v21, v20, s7, v23
	v_sub_f16_e32 v6, v10, v6
	v_sub_f16_e32 v14, v12, v14
	;; [unrolled: 1-line block ×4, first 2 shown]
	v_fma_f16 v8, v8, 2.0, -v19
	v_fma_f16 v18, v18, 2.0, -v20
	;; [unrolled: 1-line block ×4, first 2 shown]
	v_fma_f16 v13, v20, s7, v13
	v_fma_f16 v20, v22, s6, v21
	v_sub_f16_e32 v22, v15, v7
	v_fma_f16 v24, v9, s6, v8
	v_fma_f16 v25, v18, s6, v17
	v_fma_f16 v10, v10, 2.0, -v6
	v_fma_f16 v7, v11, 2.0, -v7
	;; [unrolled: 1-line block ×4, first 2 shown]
	v_fma_f16 v18, v18, s7, v24
	v_fma_f16 v9, v9, s6, v25
	v_sub_f16_e32 v7, v10, v7
	v_sub_f16_e32 v12, v11, v12
	v_add_f16_e32 v21, v6, v14
	v_fma_f16 v8, v8, 2.0, -v18
	v_fma_f16 v17, v17, 2.0, -v9
	v_fma_f16 v10, v10, 2.0, -v7
	v_fma_f16 v11, v11, 2.0, -v12
	v_fma_f16 v14, v19, 2.0, -v13
	v_fma_f16 v16, v23, 2.0, -v20
	v_fma_f16 v6, v6, 2.0, -v21
	v_fma_f16 v15, v15, 2.0, -v22
	v_pack_b32_f16 v10, v10, v11
	v_pack_b32_f16 v8, v8, v17
	ds_write2_b32 v0, v10, v8 offset0:104 offset1:247
	v_pack_b32_f16 v6, v6, v15
	v_pack_b32_f16 v8, v14, v16
	v_add_u32_e32 v10, 0x600, v0
	ds_write2_b32 v10, v6, v8 offset0:6 offset1:149
	v_pack_b32_f16 v6, v7, v12
	v_pack_b32_f16 v7, v18, v9
	v_add_u32_e32 v8, 0xa00, v0
	;; [unrolled: 4-line block ×3, first 2 shown]
	ds_write2_b32 v0, v6, v7 offset0:66 offset1:209
.LBB0_19:
	s_or_b64 exec, exec, s[4:5]
	s_waitcnt lgkmcnt(0)
	s_barrier
	s_and_saveexec_b64 s[4:5], s[0:1]
	s_cbranch_execz .LBB0_21
; %bb.20:
	v_mul_lo_u32 v0, s3, v3
	v_mul_lo_u32 v6, s2, v4
	v_mad_u64_u32 v[3:4], s[0:1], s2, v3, 0
	v_lshl_add_u32 v9, v5, 2, 0
	ds_read2_b32 v[7:8], v9 offset1:104
	v_add3_u32 v4, v4, v6, v0
	v_lshlrev_b64 v[3:4], 2, v[3:4]
	v_mov_b32_e32 v0, s11
	v_add_co_u32_e32 v3, vcc, s10, v3
	v_addc_co_u32_e32 v4, vcc, v0, v4, vcc
	v_lshlrev_b64 v[0:1], 2, v[1:2]
	v_mov_b32_e32 v6, 0
	v_add_co_u32_e32 v10, vcc, v3, v0
	v_addc_co_u32_e32 v4, vcc, v4, v1, vcc
	v_lshlrev_b64 v[0:1], 2, v[5:6]
	v_add_u32_e32 v2, 0x200, v9
	v_add_co_u32_e32 v0, vcc, v10, v0
	v_addc_co_u32_e32 v1, vcc, v4, v1, vcc
	s_waitcnt lgkmcnt(0)
	global_store_dword v[0:1], v7, off
	v_add_u32_e32 v0, 0x68, v5
	v_mov_b32_e32 v1, v6
	v_lshlrev_b64 v[0:1], 2, v[0:1]
	ds_read2_b32 v[2:3], v2 offset0:80 offset1:184
	v_add_co_u32_e32 v0, vcc, v10, v0
	v_addc_co_u32_e32 v1, vcc, v4, v1, vcc
	global_store_dword v[0:1], v8, off
	v_add_u32_e32 v0, 0xd0, v5
	v_mov_b32_e32 v1, v6
	v_lshlrev_b64 v[0:1], 2, v[0:1]
	v_add_co_u32_e32 v0, vcc, v10, v0
	v_addc_co_u32_e32 v1, vcc, v4, v1, vcc
	s_waitcnt lgkmcnt(0)
	global_store_dword v[0:1], v2, off
	v_add_u32_e32 v0, 0x138, v5
	v_mov_b32_e32 v1, v6
	v_lshlrev_b64 v[0:1], 2, v[0:1]
	v_add_u32_e32 v2, 0x600, v9
	v_add_co_u32_e32 v0, vcc, v10, v0
	v_addc_co_u32_e32 v1, vcc, v4, v1, vcc
	global_store_dword v[0:1], v3, off
	v_add_u32_e32 v0, 0x1a0, v5
	v_mov_b32_e32 v1, v6
	ds_read2_b32 v[2:3], v2 offset0:32 offset1:136
	v_lshlrev_b64 v[0:1], 2, v[0:1]
	v_add_co_u32_e32 v0, vcc, v10, v0
	v_addc_co_u32_e32 v1, vcc, v4, v1, vcc
	s_waitcnt lgkmcnt(0)
	global_store_dword v[0:1], v2, off
	v_add_u32_e32 v0, 0x208, v5
	v_mov_b32_e32 v1, v6
	v_lshlrev_b64 v[0:1], 2, v[0:1]
	v_add_u32_e32 v2, 0x800, v9
	v_add_co_u32_e32 v0, vcc, v10, v0
	v_addc_co_u32_e32 v1, vcc, v4, v1, vcc
	global_store_dword v[0:1], v3, off
	v_add_u32_e32 v0, 0x270, v5
	v_mov_b32_e32 v1, v6
	ds_read2_b32 v[2:3], v2 offset0:112 offset1:216
	;; [unrolled: 15-line block ×3, first 2 shown]
	v_lshlrev_b64 v[0:1], 2, v[0:1]
	v_add_co_u32_e32 v0, vcc, v10, v0
	v_addc_co_u32_e32 v1, vcc, v4, v1, vcc
	s_waitcnt lgkmcnt(0)
	global_store_dword v[0:1], v2, off
	v_add_u32_e32 v0, 0x3a8, v5
	v_mov_b32_e32 v1, v6
	v_lshlrev_b64 v[0:1], 2, v[0:1]
	v_add_u32_e32 v5, 0x410, v5
	v_add_co_u32_e32 v0, vcc, v10, v0
	v_addc_co_u32_e32 v1, vcc, v4, v1, vcc
	ds_read_b32 v2, v9 offset:4160
	global_store_dword v[0:1], v3, off
	v_lshlrev_b64 v[0:1], 2, v[5:6]
	v_add_co_u32_e32 v0, vcc, v10, v0
	v_addc_co_u32_e32 v1, vcc, v4, v1, vcc
	s_waitcnt lgkmcnt(0)
	global_store_dword v[0:1], v2, off
.LBB0_21:
	s_endpgm
	.section	.rodata,"a",@progbits
	.p2align	6, 0x0
	.amdhsa_kernel fft_rtc_back_len1144_factors_13_11_8_wgs_104_tpt_104_half_op_CI_CI_unitstride_sbrr_dirReg
		.amdhsa_group_segment_fixed_size 0
		.amdhsa_private_segment_fixed_size 0
		.amdhsa_kernarg_size 104
		.amdhsa_user_sgpr_count 6
		.amdhsa_user_sgpr_private_segment_buffer 1
		.amdhsa_user_sgpr_dispatch_ptr 0
		.amdhsa_user_sgpr_queue_ptr 0
		.amdhsa_user_sgpr_kernarg_segment_ptr 1
		.amdhsa_user_sgpr_dispatch_id 0
		.amdhsa_user_sgpr_flat_scratch_init 0
		.amdhsa_user_sgpr_private_segment_size 0
		.amdhsa_uses_dynamic_stack 0
		.amdhsa_system_sgpr_private_segment_wavefront_offset 0
		.amdhsa_system_sgpr_workgroup_id_x 1
		.amdhsa_system_sgpr_workgroup_id_y 0
		.amdhsa_system_sgpr_workgroup_id_z 0
		.amdhsa_system_sgpr_workgroup_info 0
		.amdhsa_system_vgpr_workitem_id 0
		.amdhsa_next_free_vgpr 112
		.amdhsa_next_free_sgpr 28
		.amdhsa_reserve_vcc 1
		.amdhsa_reserve_flat_scratch 0
		.amdhsa_float_round_mode_32 0
		.amdhsa_float_round_mode_16_64 0
		.amdhsa_float_denorm_mode_32 3
		.amdhsa_float_denorm_mode_16_64 3
		.amdhsa_dx10_clamp 1
		.amdhsa_ieee_mode 1
		.amdhsa_fp16_overflow 0
		.amdhsa_exception_fp_ieee_invalid_op 0
		.amdhsa_exception_fp_denorm_src 0
		.amdhsa_exception_fp_ieee_div_zero 0
		.amdhsa_exception_fp_ieee_overflow 0
		.amdhsa_exception_fp_ieee_underflow 0
		.amdhsa_exception_fp_ieee_inexact 0
		.amdhsa_exception_int_div_zero 0
	.end_amdhsa_kernel
	.text
.Lfunc_end0:
	.size	fft_rtc_back_len1144_factors_13_11_8_wgs_104_tpt_104_half_op_CI_CI_unitstride_sbrr_dirReg, .Lfunc_end0-fft_rtc_back_len1144_factors_13_11_8_wgs_104_tpt_104_half_op_CI_CI_unitstride_sbrr_dirReg
                                        ; -- End function
	.section	.AMDGPU.csdata,"",@progbits
; Kernel info:
; codeLenInByte = 9116
; NumSgprs: 32
; NumVgprs: 112
; ScratchSize: 0
; MemoryBound: 0
; FloatMode: 240
; IeeeMode: 1
; LDSByteSize: 0 bytes/workgroup (compile time only)
; SGPRBlocks: 3
; VGPRBlocks: 27
; NumSGPRsForWavesPerEU: 32
; NumVGPRsForWavesPerEU: 112
; Occupancy: 2
; WaveLimiterHint : 1
; COMPUTE_PGM_RSRC2:SCRATCH_EN: 0
; COMPUTE_PGM_RSRC2:USER_SGPR: 6
; COMPUTE_PGM_RSRC2:TRAP_HANDLER: 0
; COMPUTE_PGM_RSRC2:TGID_X_EN: 1
; COMPUTE_PGM_RSRC2:TGID_Y_EN: 0
; COMPUTE_PGM_RSRC2:TGID_Z_EN: 0
; COMPUTE_PGM_RSRC2:TIDIG_COMP_CNT: 0
	.type	__hip_cuid_1b3ffc6f9a7821d2,@object ; @__hip_cuid_1b3ffc6f9a7821d2
	.section	.bss,"aw",@nobits
	.globl	__hip_cuid_1b3ffc6f9a7821d2
__hip_cuid_1b3ffc6f9a7821d2:
	.byte	0                               ; 0x0
	.size	__hip_cuid_1b3ffc6f9a7821d2, 1

	.ident	"AMD clang version 19.0.0git (https://github.com/RadeonOpenCompute/llvm-project roc-6.4.0 25133 c7fe45cf4b819c5991fe208aaa96edf142730f1d)"
	.section	".note.GNU-stack","",@progbits
	.addrsig
	.addrsig_sym __hip_cuid_1b3ffc6f9a7821d2
	.amdgpu_metadata
---
amdhsa.kernels:
  - .args:
      - .actual_access:  read_only
        .address_space:  global
        .offset:         0
        .size:           8
        .value_kind:     global_buffer
      - .offset:         8
        .size:           8
        .value_kind:     by_value
      - .actual_access:  read_only
        .address_space:  global
        .offset:         16
        .size:           8
        .value_kind:     global_buffer
      - .actual_access:  read_only
        .address_space:  global
        .offset:         24
        .size:           8
        .value_kind:     global_buffer
      - .actual_access:  read_only
        .address_space:  global
        .offset:         32
        .size:           8
        .value_kind:     global_buffer
      - .offset:         40
        .size:           8
        .value_kind:     by_value
      - .actual_access:  read_only
        .address_space:  global
        .offset:         48
        .size:           8
        .value_kind:     global_buffer
      - .actual_access:  read_only
        .address_space:  global
        .offset:         56
        .size:           8
        .value_kind:     global_buffer
      - .offset:         64
        .size:           4
        .value_kind:     by_value
      - .actual_access:  read_only
        .address_space:  global
        .offset:         72
        .size:           8
        .value_kind:     global_buffer
      - .actual_access:  read_only
        .address_space:  global
        .offset:         80
        .size:           8
        .value_kind:     global_buffer
      - .actual_access:  read_only
        .address_space:  global
        .offset:         88
        .size:           8
        .value_kind:     global_buffer
      - .actual_access:  write_only
        .address_space:  global
        .offset:         96
        .size:           8
        .value_kind:     global_buffer
    .group_segment_fixed_size: 0
    .kernarg_segment_align: 8
    .kernarg_segment_size: 104
    .language:       OpenCL C
    .language_version:
      - 2
      - 0
    .max_flat_workgroup_size: 104
    .name:           fft_rtc_back_len1144_factors_13_11_8_wgs_104_tpt_104_half_op_CI_CI_unitstride_sbrr_dirReg
    .private_segment_fixed_size: 0
    .sgpr_count:     32
    .sgpr_spill_count: 0
    .symbol:         fft_rtc_back_len1144_factors_13_11_8_wgs_104_tpt_104_half_op_CI_CI_unitstride_sbrr_dirReg.kd
    .uniform_work_group_size: 1
    .uses_dynamic_stack: false
    .vgpr_count:     112
    .vgpr_spill_count: 0
    .wavefront_size: 64
amdhsa.target:   amdgcn-amd-amdhsa--gfx906
amdhsa.version:
  - 1
  - 2
...

	.end_amdgpu_metadata
